;; amdgpu-corpus repo=ROCm/MIOpen kind=compiled arch=gfx906 opt=O3
	.amdgcn_target "amdgcn-amd-amdhsa--gfx906"
	.amdhsa_code_object_version 6
	.text
	.protected	MultiMarginLossForward2d ; -- Begin function MultiMarginLossForward2d
	.globl	MultiMarginLossForward2d
	.p2align	8
	.type	MultiMarginLossForward2d,@function
MultiMarginLossForward2d:               ; @MultiMarginLossForward2d
; %bb.0:
	s_load_dword s0, s[4:5], 0x8c
	s_load_dwordx8 s[8:15], s[4:5], 0x30
	v_mov_b32_e32 v1, 0
	s_waitcnt lgkmcnt(0)
	s_and_b32 s0, s0, 0xffff
	s_mul_i32 s6, s6, s0
	v_add_u32_e32 v0, s6, v0
	v_cmp_gt_u64_e32 vcc, s[12:13], v[0:1]
	s_and_saveexec_b64 s[0:1], vcc
	s_cbranch_execz .LBB0_7
; %bb.1:
	s_load_dwordx2 s[0:1], s[4:5], 0x50
	s_waitcnt lgkmcnt(0)
	v_mad_u64_u32 v[1:2], s[2:3], s0, v0, 0
	s_load_dwordx2 s[2:3], s[4:5], 0x8
	v_mad_u64_u32 v[2:3], s[0:1], s1, v0, v[2:3]
	s_waitcnt lgkmcnt(0)
	v_mov_b32_e32 v3, s3
	v_lshlrev_b64 v[1:2], 3, v[1:2]
	v_add_co_u32_e32 v1, vcc, s2, v1
	v_addc_co_u32_e32 v2, vcc, v3, v2, vcc
	global_load_dwordx2 v[1:2], v[1:2], off
	s_waitcnt vmcnt(0)
	v_cmp_gt_u64_e32 vcc, s[14:15], v[1:2]
	s_and_b64 exec, exec, vcc
	s_cbranch_execz .LBB0_7
; %bb.2:
	v_mad_u64_u32 v[3:4], s[0:1], s8, v0, 0
	v_mul_lo_u32 v7, v2, s10
	v_mul_lo_u32 v8, v1, s11
	v_mad_u64_u32 v[4:5], s[6:7], s9, v0, v[4:5]
	v_mad_u64_u32 v[5:6], s[6:7], v1, s10, 0
	s_load_dwordx2 s[12:13], s[4:5], 0x0
	s_load_dwordx4 s[0:3], s[4:5], 0x10
	s_load_dwordx2 s[8:9], s[4:5], 0x60
	s_load_dwordx2 s[6:7], s[4:5], 0x70
	s_load_dword s16, s[4:5], 0x28
	v_add3_u32 v6, v6, v8, v7
	v_lshlrev_b64 v[5:6], 2, v[5:6]
	s_waitcnt lgkmcnt(0)
	v_mov_b32_e32 v7, s13
	v_add_co_u32_e32 v8, vcc, s12, v5
	v_addc_co_u32_e32 v9, vcc, v7, v6, vcc
	v_mul_lo_u32 v10, v2, s8
	v_mul_lo_u32 v11, v1, s9
	v_mad_u64_u32 v[5:6], s[8:9], v1, s8, 0
	v_lshlrev_b64 v[3:4], 2, v[3:4]
	v_add3_u32 v6, v6, v11, v10
	v_add_co_u32_e32 v7, vcc, v8, v3
	v_lshlrev_b64 v[5:6], 2, v[5:6]
	v_addc_co_u32_e32 v8, vcc, v9, v4, vcc
	global_load_dword v7, v[7:8], off
	v_mov_b32_e32 v8, s1
	v_add_co_u32_e32 v5, vcc, s0, v5
	v_addc_co_u32_e32 v6, vcc, v8, v6, vcc
	global_load_dword v6, v[5:6], off
	s_load_dwordx2 s[0:1], s[4:5], 0x20
	v_mov_b32_e32 v5, s13
	s_mov_b64 s[4:5], 0
	s_waitcnt lgkmcnt(0)
	s_cmp_eq_u64 s[0:1], 2
	v_add_co_u32_e64 v3, s[0:1], s12, v3
	s_cselect_b64 vcc, -1, 0
	s_lshl_b64 s[8:9], s[10:11], 2
	v_addc_co_u32_e64 v4, s[0:1], v5, v4, s[0:1]
	v_mov_b32_e32 v5, 0
	s_waitcnt vmcnt(1)
	v_sub_f32_e32 v7, s16, v7
	s_branch .LBB0_4
.LBB0_3:                                ;   in Loop: Header=BB0_4 Depth=1
	s_or_b64 exec, exec, s[10:11]
	s_add_u32 s4, s4, 1
	s_addc_u32 s5, s5, 0
	v_mov_b32_e32 v8, s9
	v_add_co_u32_e64 v3, s[0:1], s8, v3
	s_cmp_eq_u64 s[14:15], s[4:5]
	v_addc_co_u32_e64 v4, s[0:1], v4, v8, s[0:1]
	s_cbranch_scc1 .LBB0_6
.LBB0_4:                                ; =>This Inner Loop Header: Depth=1
	v_cmp_ne_u64_e64 s[0:1], s[4:5], v[1:2]
	s_and_saveexec_b64 s[10:11], s[0:1]
	s_cbranch_execz .LBB0_3
; %bb.5:                                ;   in Loop: Header=BB0_4 Depth=1
	global_load_dword v8, v[3:4], off
	s_waitcnt vmcnt(0)
	v_add_f32_e32 v8, v7, v8
	v_mul_f32_e32 v9, v8, v8
	v_cndmask_b32_e32 v9, v8, v9, vcc
	v_fma_f32 v9, v6, v9, v5
	v_cmp_gt_f32_e64 s[0:1], 0, v8
	v_cndmask_b32_e64 v5, v9, v5, s[0:1]
	s_branch .LBB0_3
.LBB0_6:
	s_flbit_i32_b32 s0, s15
	s_min_u32 s4, s0, 32
	s_lshl_b64 s[0:1], s[14:15], s4
	s_min_u32 s0, s0, 1
	s_or_b32 s0, s1, s0
	v_cvt_f32_u32_e32 v1, s0
	s_sub_i32 s0, 32, s4
	v_ldexp_f32 v4, v1, s0
	v_div_scale_f32 v1, s[0:1], v4, v4, v5
	v_div_scale_f32 v2, vcc, v5, v4, v5
	v_rcp_f32_e32 v3, v1
	s_waitcnt vmcnt(0)
	v_fma_f32 v6, -v1, v3, 1.0
	v_fmac_f32_e32 v3, v6, v3
	v_mul_f32_e32 v6, v2, v3
	v_fma_f32 v7, -v1, v6, v2
	v_fmac_f32_e32 v6, v7, v3
	v_fma_f32 v1, -v1, v6, v2
	v_div_fmas_f32 v6, v1, v3, v6
	v_mad_u64_u32 v[1:2], s[0:1], s6, v0, 0
	v_mad_u64_u32 v[2:3], s[0:1], s7, v0, v[2:3]
	v_mov_b32_e32 v3, s3
	v_lshlrev_b64 v[0:1], 2, v[1:2]
	v_add_co_u32_e32 v0, vcc, s2, v0
	v_addc_co_u32_e32 v1, vcc, v3, v1, vcc
	v_div_fixup_f32 v2, v6, v4, v5
	global_store_dword v[0:1], v2, off
.LBB0_7:
	s_endpgm
	.section	.rodata,"a",@progbits
	.p2align	6, 0x0
	.amdhsa_kernel MultiMarginLossForward2d
		.amdhsa_group_segment_fixed_size 0
		.amdhsa_private_segment_fixed_size 0
		.amdhsa_kernarg_size 384
		.amdhsa_user_sgpr_count 6
		.amdhsa_user_sgpr_private_segment_buffer 1
		.amdhsa_user_sgpr_dispatch_ptr 0
		.amdhsa_user_sgpr_queue_ptr 0
		.amdhsa_user_sgpr_kernarg_segment_ptr 1
		.amdhsa_user_sgpr_dispatch_id 0
		.amdhsa_user_sgpr_flat_scratch_init 0
		.amdhsa_user_sgpr_private_segment_size 0
		.amdhsa_uses_dynamic_stack 0
		.amdhsa_system_sgpr_private_segment_wavefront_offset 0
		.amdhsa_system_sgpr_workgroup_id_x 1
		.amdhsa_system_sgpr_workgroup_id_y 0
		.amdhsa_system_sgpr_workgroup_id_z 0
		.amdhsa_system_sgpr_workgroup_info 0
		.amdhsa_system_vgpr_workitem_id 0
		.amdhsa_next_free_vgpr 12
		.amdhsa_next_free_sgpr 17
		.amdhsa_reserve_vcc 1
		.amdhsa_reserve_flat_scratch 0
		.amdhsa_float_round_mode_32 0
		.amdhsa_float_round_mode_16_64 0
		.amdhsa_float_denorm_mode_32 3
		.amdhsa_float_denorm_mode_16_64 3
		.amdhsa_dx10_clamp 1
		.amdhsa_ieee_mode 1
		.amdhsa_fp16_overflow 0
		.amdhsa_exception_fp_ieee_invalid_op 0
		.amdhsa_exception_fp_denorm_src 0
		.amdhsa_exception_fp_ieee_div_zero 0
		.amdhsa_exception_fp_ieee_overflow 0
		.amdhsa_exception_fp_ieee_underflow 0
		.amdhsa_exception_fp_ieee_inexact 0
		.amdhsa_exception_int_div_zero 0
	.end_amdhsa_kernel
	.text
.Lfunc_end0:
	.size	MultiMarginLossForward2d, .Lfunc_end0-MultiMarginLossForward2d
                                        ; -- End function
	.set MultiMarginLossForward2d.num_vgpr, 12
	.set MultiMarginLossForward2d.num_agpr, 0
	.set MultiMarginLossForward2d.numbered_sgpr, 17
	.set MultiMarginLossForward2d.num_named_barrier, 0
	.set MultiMarginLossForward2d.private_seg_size, 0
	.set MultiMarginLossForward2d.uses_vcc, 1
	.set MultiMarginLossForward2d.uses_flat_scratch, 0
	.set MultiMarginLossForward2d.has_dyn_sized_stack, 0
	.set MultiMarginLossForward2d.has_recursion, 0
	.set MultiMarginLossForward2d.has_indirect_call, 0
	.section	.AMDGPU.csdata,"",@progbits
; Kernel info:
; codeLenInByte = 664
; TotalNumSgprs: 21
; NumVgprs: 12
; ScratchSize: 0
; MemoryBound: 0
; FloatMode: 240
; IeeeMode: 1
; LDSByteSize: 0 bytes/workgroup (compile time only)
; SGPRBlocks: 2
; VGPRBlocks: 2
; NumSGPRsForWavesPerEU: 21
; NumVGPRsForWavesPerEU: 12
; Occupancy: 10
; WaveLimiterHint : 1
; COMPUTE_PGM_RSRC2:SCRATCH_EN: 0
; COMPUTE_PGM_RSRC2:USER_SGPR: 6
; COMPUTE_PGM_RSRC2:TRAP_HANDLER: 0
; COMPUTE_PGM_RSRC2:TGID_X_EN: 1
; COMPUTE_PGM_RSRC2:TGID_Y_EN: 0
; COMPUTE_PGM_RSRC2:TGID_Z_EN: 0
; COMPUTE_PGM_RSRC2:TIDIG_COMP_CNT: 0
	.section	.AMDGPU.gpr_maximums,"",@progbits
	.set amdgpu.max_num_vgpr, 0
	.set amdgpu.max_num_agpr, 0
	.set amdgpu.max_num_sgpr, 0
	.section	.AMDGPU.csdata,"",@progbits
	.type	__hip_cuid_25f5fba7aac429f0,@object ; @__hip_cuid_25f5fba7aac429f0
	.section	.bss,"aw",@nobits
	.globl	__hip_cuid_25f5fba7aac429f0
__hip_cuid_25f5fba7aac429f0:
	.byte	0                               ; 0x0
	.size	__hip_cuid_25f5fba7aac429f0, 1

	.ident	"AMD clang version 22.0.0git (https://github.com/RadeonOpenCompute/llvm-project roc-7.2.4 26084 f58b06dce1f9c15707c5f808fd002e18c2accf7e)"
	.section	".note.GNU-stack","",@progbits
	.addrsig
	.addrsig_sym __hip_cuid_25f5fba7aac429f0
	.amdgpu_metadata
---
amdhsa.kernels:
  - .args:
      - .actual_access:  read_only
        .address_space:  global
        .offset:         0
        .size:           8
        .value_kind:     global_buffer
      - .actual_access:  read_only
        .address_space:  global
        .offset:         8
        .size:           8
        .value_kind:     global_buffer
      - .actual_access:  read_only
        .address_space:  global
        .offset:         16
        .size:           8
        .value_kind:     global_buffer
      - .actual_access:  write_only
        .address_space:  global
        .offset:         24
        .size:           8
        .value_kind:     global_buffer
      - .offset:         32
        .size:           8
        .value_kind:     by_value
      - .offset:         40
        .size:           4
        .value_kind:     by_value
      - .offset:         48
        .size:           32
        .value_kind:     by_value
      - .offset:         80
        .size:           16
        .value_kind:     by_value
      - .offset:         96
        .size:           16
        .value_kind:     by_value
      - .offset:         112
        .size:           16
        .value_kind:     by_value
      - .offset:         128
        .size:           4
        .value_kind:     hidden_block_count_x
      - .offset:         132
        .size:           4
        .value_kind:     hidden_block_count_y
      - .offset:         136
        .size:           4
        .value_kind:     hidden_block_count_z
      - .offset:         140
        .size:           2
        .value_kind:     hidden_group_size_x
      - .offset:         142
        .size:           2
        .value_kind:     hidden_group_size_y
      - .offset:         144
        .size:           2
        .value_kind:     hidden_group_size_z
      - .offset:         146
        .size:           2
        .value_kind:     hidden_remainder_x
      - .offset:         148
        .size:           2
        .value_kind:     hidden_remainder_y
      - .offset:         150
        .size:           2
        .value_kind:     hidden_remainder_z
      - .offset:         168
        .size:           8
        .value_kind:     hidden_global_offset_x
      - .offset:         176
        .size:           8
        .value_kind:     hidden_global_offset_y
      - .offset:         184
        .size:           8
        .value_kind:     hidden_global_offset_z
      - .offset:         192
        .size:           2
        .value_kind:     hidden_grid_dims
    .group_segment_fixed_size: 0
    .kernarg_segment_align: 8
    .kernarg_segment_size: 384
    .language:       OpenCL C
    .language_version:
      - 2
      - 0
    .max_flat_workgroup_size: 1024
    .name:           MultiMarginLossForward2d
    .private_segment_fixed_size: 0
    .sgpr_count:     21
    .sgpr_spill_count: 0
    .symbol:         MultiMarginLossForward2d.kd
    .uniform_work_group_size: 1
    .uses_dynamic_stack: false
    .vgpr_count:     12
    .vgpr_spill_count: 0
    .wavefront_size: 64
amdhsa.target:   amdgcn-amd-amdhsa--gfx906
amdhsa.version:
  - 1
  - 2
...

	.end_amdgpu_metadata
